;; amdgpu-corpus repo=ROCm/rocFFT kind=compiled arch=gfx906 opt=O3
	.text
	.amdgcn_target "amdgcn-amd-amdhsa--gfx906"
	.amdhsa_code_object_version 6
	.protected	fft_rtc_back_len1848_factors_3_11_7_4_2_wgs_231_tpt_231_halfLds_dp_op_CI_CI_unitstride_sbrr_dirReg ; -- Begin function fft_rtc_back_len1848_factors_3_11_7_4_2_wgs_231_tpt_231_halfLds_dp_op_CI_CI_unitstride_sbrr_dirReg
	.globl	fft_rtc_back_len1848_factors_3_11_7_4_2_wgs_231_tpt_231_halfLds_dp_op_CI_CI_unitstride_sbrr_dirReg
	.p2align	8
	.type	fft_rtc_back_len1848_factors_3_11_7_4_2_wgs_231_tpt_231_halfLds_dp_op_CI_CI_unitstride_sbrr_dirReg,@function
fft_rtc_back_len1848_factors_3_11_7_4_2_wgs_231_tpt_231_halfLds_dp_op_CI_CI_unitstride_sbrr_dirReg: ; @fft_rtc_back_len1848_factors_3_11_7_4_2_wgs_231_tpt_231_halfLds_dp_op_CI_CI_unitstride_sbrr_dirReg
; %bb.0:
	s_load_dwordx4 s[8:11], s[4:5], 0x58
	s_load_dwordx4 s[12:15], s[4:5], 0x0
	;; [unrolled: 1-line block ×3, first 2 shown]
	v_mul_u32_u24_e32 v1, 0x11c, v0
	v_add_u32_sdwa v6, s6, v1 dst_sel:DWORD dst_unused:UNUSED_PAD src0_sel:DWORD src1_sel:WORD_1
	v_mov_b32_e32 v1, 0
	s_waitcnt lgkmcnt(0)
	v_cmp_lt_u64_e64 s[0:1], s[14:15], 2
	v_mov_b32_e32 v4, 0
	v_mov_b32_e32 v7, v1
	s_and_b64 vcc, exec, s[0:1]
	v_mov_b32_e32 v5, 0
	s_cbranch_vccnz .LBB0_8
; %bb.1:
	s_load_dwordx2 s[0:1], s[4:5], 0x10
	s_add_u32 s2, s18, 8
	s_addc_u32 s3, s19, 0
	s_add_u32 s6, s16, 8
	v_mov_b32_e32 v4, 0
	s_addc_u32 s7, s17, 0
	v_mov_b32_e32 v5, 0
	s_waitcnt lgkmcnt(0)
	s_add_u32 s20, s0, 8
	v_mov_b32_e32 v57, v5
	s_addc_u32 s21, s1, 0
	s_mov_b64 s[22:23], 1
	v_mov_b32_e32 v56, v4
.LBB0_2:                                ; =>This Inner Loop Header: Depth=1
	s_load_dwordx2 s[24:25], s[20:21], 0x0
                                        ; implicit-def: $vgpr60_vgpr61
	s_waitcnt lgkmcnt(0)
	v_or_b32_e32 v2, s25, v7
	v_cmp_ne_u64_e32 vcc, 0, v[1:2]
	s_and_saveexec_b64 s[0:1], vcc
	s_xor_b64 s[26:27], exec, s[0:1]
	s_cbranch_execz .LBB0_4
; %bb.3:                                ;   in Loop: Header=BB0_2 Depth=1
	v_cvt_f32_u32_e32 v2, s24
	v_cvt_f32_u32_e32 v3, s25
	s_sub_u32 s0, 0, s24
	s_subb_u32 s1, 0, s25
	v_mac_f32_e32 v2, 0x4f800000, v3
	v_rcp_f32_e32 v2, v2
	v_mul_f32_e32 v2, 0x5f7ffffc, v2
	v_mul_f32_e32 v3, 0x2f800000, v2
	v_trunc_f32_e32 v3, v3
	v_mac_f32_e32 v2, 0xcf800000, v3
	v_cvt_u32_f32_e32 v3, v3
	v_cvt_u32_f32_e32 v2, v2
	v_mul_lo_u32 v8, s0, v3
	v_mul_hi_u32 v9, s0, v2
	v_mul_lo_u32 v11, s1, v2
	v_mul_lo_u32 v10, s0, v2
	v_add_u32_e32 v8, v9, v8
	v_add_u32_e32 v8, v8, v11
	v_mul_hi_u32 v9, v2, v10
	v_mul_lo_u32 v11, v2, v8
	v_mul_hi_u32 v13, v2, v8
	v_mul_hi_u32 v12, v3, v10
	v_mul_lo_u32 v10, v3, v10
	v_mul_hi_u32 v14, v3, v8
	v_add_co_u32_e32 v9, vcc, v9, v11
	v_addc_co_u32_e32 v11, vcc, 0, v13, vcc
	v_mul_lo_u32 v8, v3, v8
	v_add_co_u32_e32 v9, vcc, v9, v10
	v_addc_co_u32_e32 v9, vcc, v11, v12, vcc
	v_addc_co_u32_e32 v10, vcc, 0, v14, vcc
	v_add_co_u32_e32 v8, vcc, v9, v8
	v_addc_co_u32_e32 v9, vcc, 0, v10, vcc
	v_add_co_u32_e32 v2, vcc, v2, v8
	v_addc_co_u32_e32 v3, vcc, v3, v9, vcc
	v_mul_lo_u32 v8, s0, v3
	v_mul_hi_u32 v9, s0, v2
	v_mul_lo_u32 v10, s1, v2
	v_mul_lo_u32 v11, s0, v2
	v_add_u32_e32 v8, v9, v8
	v_add_u32_e32 v8, v8, v10
	v_mul_lo_u32 v12, v2, v8
	v_mul_hi_u32 v13, v2, v11
	v_mul_hi_u32 v14, v2, v8
	v_mul_hi_u32 v10, v3, v11
	v_mul_lo_u32 v11, v3, v11
	v_mul_hi_u32 v9, v3, v8
	v_add_co_u32_e32 v12, vcc, v13, v12
	v_addc_co_u32_e32 v13, vcc, 0, v14, vcc
	v_mul_lo_u32 v8, v3, v8
	v_add_co_u32_e32 v11, vcc, v12, v11
	v_addc_co_u32_e32 v10, vcc, v13, v10, vcc
	v_addc_co_u32_e32 v9, vcc, 0, v9, vcc
	v_add_co_u32_e32 v8, vcc, v10, v8
	v_addc_co_u32_e32 v9, vcc, 0, v9, vcc
	v_add_co_u32_e32 v8, vcc, v2, v8
	v_addc_co_u32_e32 v9, vcc, v3, v9, vcc
	v_mad_u64_u32 v[2:3], s[0:1], v6, v9, 0
	v_mul_hi_u32 v10, v6, v8
	v_add_co_u32_e32 v10, vcc, v10, v2
	v_addc_co_u32_e32 v11, vcc, 0, v3, vcc
	v_mad_u64_u32 v[2:3], s[0:1], v7, v8, 0
	v_mad_u64_u32 v[8:9], s[0:1], v7, v9, 0
	v_add_co_u32_e32 v2, vcc, v10, v2
	v_addc_co_u32_e32 v2, vcc, v11, v3, vcc
	v_addc_co_u32_e32 v3, vcc, 0, v9, vcc
	v_add_co_u32_e32 v8, vcc, v2, v8
	v_addc_co_u32_e32 v9, vcc, 0, v3, vcc
	v_mul_lo_u32 v10, s25, v8
	v_mul_lo_u32 v11, s24, v9
	v_mad_u64_u32 v[2:3], s[0:1], s24, v8, 0
	v_add3_u32 v3, v3, v11, v10
	v_sub_u32_e32 v10, v7, v3
	v_mov_b32_e32 v11, s25
	v_sub_co_u32_e32 v2, vcc, v6, v2
	v_subb_co_u32_e64 v10, s[0:1], v10, v11, vcc
	v_subrev_co_u32_e64 v11, s[0:1], s24, v2
	v_subbrev_co_u32_e64 v10, s[0:1], 0, v10, s[0:1]
	v_cmp_le_u32_e64 s[0:1], s25, v10
	v_cndmask_b32_e64 v12, 0, -1, s[0:1]
	v_cmp_le_u32_e64 s[0:1], s24, v11
	v_cndmask_b32_e64 v11, 0, -1, s[0:1]
	v_cmp_eq_u32_e64 s[0:1], s25, v10
	v_cndmask_b32_e64 v10, v12, v11, s[0:1]
	v_add_co_u32_e64 v11, s[0:1], 2, v8
	v_addc_co_u32_e64 v12, s[0:1], 0, v9, s[0:1]
	v_add_co_u32_e64 v13, s[0:1], 1, v8
	v_addc_co_u32_e64 v14, s[0:1], 0, v9, s[0:1]
	v_subb_co_u32_e32 v3, vcc, v7, v3, vcc
	v_cmp_ne_u32_e64 s[0:1], 0, v10
	v_cmp_le_u32_e32 vcc, s25, v3
	v_cndmask_b32_e64 v10, v14, v12, s[0:1]
	v_cndmask_b32_e64 v12, 0, -1, vcc
	v_cmp_le_u32_e32 vcc, s24, v2
	v_cndmask_b32_e64 v2, 0, -1, vcc
	v_cmp_eq_u32_e32 vcc, s25, v3
	v_cndmask_b32_e32 v2, v12, v2, vcc
	v_cmp_ne_u32_e32 vcc, 0, v2
	v_cndmask_b32_e64 v2, v13, v11, s[0:1]
	v_cndmask_b32_e32 v61, v9, v10, vcc
	v_cndmask_b32_e32 v60, v8, v2, vcc
.LBB0_4:                                ;   in Loop: Header=BB0_2 Depth=1
	s_andn2_saveexec_b64 s[0:1], s[26:27]
	s_cbranch_execz .LBB0_6
; %bb.5:                                ;   in Loop: Header=BB0_2 Depth=1
	v_cvt_f32_u32_e32 v2, s24
	s_sub_i32 s26, 0, s24
	v_mov_b32_e32 v61, v1
	v_rcp_iflag_f32_e32 v2, v2
	v_mul_f32_e32 v2, 0x4f7ffffe, v2
	v_cvt_u32_f32_e32 v2, v2
	v_mul_lo_u32 v3, s26, v2
	v_mul_hi_u32 v3, v2, v3
	v_add_u32_e32 v2, v2, v3
	v_mul_hi_u32 v2, v6, v2
	v_mul_lo_u32 v3, v2, s24
	v_add_u32_e32 v8, 1, v2
	v_sub_u32_e32 v3, v6, v3
	v_subrev_u32_e32 v9, s24, v3
	v_cmp_le_u32_e32 vcc, s24, v3
	v_cndmask_b32_e32 v3, v3, v9, vcc
	v_cndmask_b32_e32 v2, v2, v8, vcc
	v_add_u32_e32 v8, 1, v2
	v_cmp_le_u32_e32 vcc, s24, v3
	v_cndmask_b32_e32 v60, v2, v8, vcc
.LBB0_6:                                ;   in Loop: Header=BB0_2 Depth=1
	s_or_b64 exec, exec, s[0:1]
	v_mul_lo_u32 v8, v61, s24
	v_mul_lo_u32 v9, v60, s25
	v_mad_u64_u32 v[2:3], s[0:1], v60, s24, 0
	s_load_dwordx2 s[0:1], s[6:7], 0x0
	s_load_dwordx2 s[24:25], s[2:3], 0x0
	v_add3_u32 v3, v3, v9, v8
	v_sub_co_u32_e32 v2, vcc, v6, v2
	v_subb_co_u32_e32 v3, vcc, v7, v3, vcc
	s_waitcnt lgkmcnt(0)
	v_mul_lo_u32 v6, s0, v3
	v_mul_lo_u32 v7, s1, v2
	v_mad_u64_u32 v[4:5], s[0:1], s0, v2, v[4:5]
	v_mul_lo_u32 v3, s24, v3
	v_mul_lo_u32 v8, s25, v2
	v_mad_u64_u32 v[56:57], s[0:1], s24, v2, v[56:57]
	s_add_u32 s22, s22, 1
	s_addc_u32 s23, s23, 0
	s_add_u32 s2, s2, 8
	v_add3_u32 v57, v8, v57, v3
	s_addc_u32 s3, s3, 0
	v_mov_b32_e32 v2, s14
	s_add_u32 s6, s6, 8
	v_mov_b32_e32 v3, s15
	s_addc_u32 s7, s7, 0
	v_cmp_ge_u64_e32 vcc, s[22:23], v[2:3]
	s_add_u32 s20, s20, 8
	v_add3_u32 v5, v7, v5, v6
	s_addc_u32 s21, s21, 0
	s_cbranch_vccnz .LBB0_9
; %bb.7:                                ;   in Loop: Header=BB0_2 Depth=1
	v_mov_b32_e32 v6, v60
	v_mov_b32_e32 v7, v61
	s_branch .LBB0_2
.LBB0_8:
	v_mov_b32_e32 v57, v5
	v_mov_b32_e32 v61, v7
	;; [unrolled: 1-line block ×4, first 2 shown]
.LBB0_9:
	s_load_dwordx2 s[2:3], s[4:5], 0x28
	s_lshl_b64 s[6:7], s[14:15], 3
	s_add_u32 s4, s18, s6
	s_addc_u32 s5, s19, s7
                                        ; implicit-def: $vgpr58
	s_waitcnt lgkmcnt(0)
	v_cmp_gt_u64_e64 s[0:1], s[2:3], v[60:61]
	v_cmp_le_u64_e32 vcc, s[2:3], v[60:61]
	s_and_saveexec_b64 s[2:3], vcc
	s_xor_b64 s[2:3], exec, s[2:3]
; %bb.10:
	s_mov_b32 s14, 0x11bb4a5
	v_mul_hi_u32 v1, v0, s14
                                        ; implicit-def: $vgpr4_vgpr5
	v_mul_u32_u24_e32 v1, 0xe7, v1
	v_sub_u32_e32 v58, v0, v1
                                        ; implicit-def: $vgpr0
; %bb.11:
	s_or_saveexec_b64 s[2:3], s[2:3]
	s_load_dwordx2 s[4:5], s[4:5], 0x0
                                        ; implicit-def: $vgpr26_vgpr27
                                        ; implicit-def: $vgpr30_vgpr31
                                        ; implicit-def: $vgpr34_vgpr35
                                        ; implicit-def: $vgpr42_vgpr43
                                        ; implicit-def: $vgpr54_vgpr55
                                        ; implicit-def: $vgpr46_vgpr47
                                        ; implicit-def: $vgpr38_vgpr39
                                        ; implicit-def: $vgpr50_vgpr51
                                        ; implicit-def: $vgpr2_vgpr3
	s_xor_b64 exec, exec, s[2:3]
	s_cbranch_execz .LBB0_15
; %bb.12:
	s_add_u32 s6, s16, s6
	s_addc_u32 s7, s17, s7
	s_load_dwordx2 s[6:7], s[6:7], 0x0
	s_mov_b32 s14, 0x11bb4a5
	v_mul_hi_u32 v3, v0, s14
                                        ; implicit-def: $vgpr44_vgpr45
                                        ; implicit-def: $vgpr52_vgpr53
                                        ; implicit-def: $vgpr40_vgpr41
	s_waitcnt lgkmcnt(0)
	v_mul_lo_u32 v6, s7, v60
	v_mul_lo_u32 v7, s6, v61
	v_mad_u64_u32 v[1:2], s[6:7], s6, v60, 0
	v_mul_u32_u24_e32 v3, 0xe7, v3
	v_sub_u32_e32 v58, v0, v3
	v_add3_u32 v2, v2, v7, v6
	v_lshlrev_b64 v[0:1], 4, v[1:2]
	v_mov_b32_e32 v2, s9
	v_add_co_u32_e32 v3, vcc, s8, v0
	v_addc_co_u32_e32 v2, vcc, v2, v1, vcc
	v_lshlrev_b64 v[0:1], 4, v[4:5]
	s_movk_i32 s6, 0x2000
	v_add_co_u32_e32 v0, vcc, v3, v0
	v_addc_co_u32_e32 v1, vcc, v2, v1, vcc
	v_lshlrev_b32_e32 v2, 4, v58
	v_add_co_u32_e32 v4, vcc, v0, v2
	v_addc_co_u32_e32 v5, vcc, 0, v1, vcc
	v_add_co_u32_e32 v0, vcc, s6, v4
	v_addc_co_u32_e32 v1, vcc, 0, v5, vcc
	s_movk_i32 s6, 0x4000
	v_add_co_u32_e32 v6, vcc, s6, v4
	v_addc_co_u32_e32 v7, vcc, 0, v5, vcc
	s_movk_i32 s6, 0x3000
	v_add_co_u32_e32 v8, vcc, s6, v4
	v_addc_co_u32_e32 v9, vcc, 0, v5, vcc
	v_add_co_u32_e32 v10, vcc, 0x5000, v4
	global_load_dwordx4 v[24:27], v[0:1], off offset:1664
	global_load_dwordx4 v[28:31], v[6:7], off offset:3328
	v_addc_co_u32_e32 v11, vcc, 0, v5, vcc
	global_load_dwordx4 v[36:39], v[8:9], off offset:1264
	global_load_dwordx4 v[32:35], v[10:11], off offset:2928
	global_load_dwordx4 v[0:3], v[4:5], off
	global_load_dwordx4 v[48:51], v[4:5], off offset:3696
	s_movk_i32 s6, 0x9a
	v_cmp_gt_u32_e32 vcc, s6, v58
	s_and_saveexec_b64 s[6:7], vcc
	s_cbranch_execz .LBB0_14
; %bb.13:
	v_add_co_u32_e32 v8, vcc, 0x1000, v4
	v_addc_co_u32_e32 v9, vcc, 0, v5, vcc
	v_add_co_u32_e32 v4, vcc, 0x6000, v4
	v_addc_co_u32_e32 v5, vcc, 0, v5, vcc
	global_load_dwordx4 v[40:43], v[8:9], off offset:3296
	global_load_dwordx4 v[44:47], v[6:7], off offset:864
	;; [unrolled: 1-line block ×3, first 2 shown]
.LBB0_14:
	s_or_b64 exec, exec, s[6:7]
.LBB0_15:
	s_or_b64 exec, exec, s[2:3]
	s_waitcnt vmcnt(2)
	v_add_f64 v[4:5], v[32:33], v[36:37]
	v_add_f64 v[8:9], v[24:25], v[28:29]
	s_waitcnt vmcnt(0)
	v_add_f64 v[14:15], v[52:53], v[44:45]
	v_add_f64 v[6:7], v[36:37], v[48:49]
	v_add_f64 v[12:13], v[38:39], -v[34:35]
	v_add_f64 v[18:19], v[26:27], -v[30:31]
	v_add_f64 v[20:21], v[40:41], v[44:45]
	s_mov_b32 s2, 0xe8584caa
	v_fma_f64 v[16:17], v[4:5], -0.5, v[48:49]
	v_add_f64 v[4:5], v[24:25], v[0:1]
	v_fma_f64 v[0:1], v[8:9], -0.5, v[0:1]
	v_add_f64 v[48:49], v[46:47], -v[54:55]
	v_fma_f64 v[14:15], v[14:15], -0.5, v[40:41]
	s_mov_b32 s3, 0xbfebb67a
	s_mov_b32 s7, 0x3febb67a
	;; [unrolled: 1-line block ×3, first 2 shown]
	v_add_f64 v[10:11], v[32:33], v[6:7]
	v_fma_f64 v[62:63], v[12:13], s[2:3], v[16:17]
	v_add_f64 v[4:5], v[28:29], v[4:5]
	v_fma_f64 v[6:7], v[18:19], s[2:3], v[0:1]
	v_fma_f64 v[8:9], v[18:19], s[6:7], v[0:1]
	;; [unrolled: 1-line block ×3, first 2 shown]
	v_add_f64 v[20:21], v[52:53], v[20:21]
	v_fma_f64 v[22:23], v[48:49], s[2:3], v[14:15]
	v_fma_f64 v[12:13], v[48:49], s[6:7], v[14:15]
	v_mad_u32_u24 v59, v58, 24, 0
	s_movk_i32 s2, 0x9a
	v_add_u32_e32 v0, 0x15a8, v59
	v_cmp_gt_u32_e64 s[2:3], s2, v58
	ds_write2_b64 v0, v[10:11], v[62:63] offset1:1
	ds_write2_b64 v59, v[4:5], v[6:7] offset1:1
	ds_write_b64 v59, v[8:9] offset:16
	ds_write_b64 v59, v[18:19] offset:5560
	s_and_saveexec_b64 s[6:7], s[2:3]
	s_cbranch_execz .LBB0_17
; %bb.16:
	v_add_u32_e32 v0, 0x2b50, v59
	ds_write2_b64 v0, v[20:21], v[22:23] offset1:1
	ds_write_b64 v59, v[12:13] offset:11104
.LBB0_17:
	s_or_b64 exec, exec, s[6:7]
	s_movk_i32 s6, 0xa8
	v_cmp_gt_u32_e32 vcc, s6, v58
	v_lshlrev_b32_e32 v40, 4, v58
	s_waitcnt lgkmcnt(0)
	s_barrier
	s_waitcnt lgkmcnt(0)
                                        ; implicit-def: $vgpr48_vgpr49
	s_and_saveexec_b64 s[6:7], vcc
	s_cbranch_execz .LBB0_19
; %bb.18:
	v_sub_u32_e32 v0, v59, v40
	v_add_u32_e32 v1, 0x800, v0
	ds_read2_b64 v[8:11], v1 offset0:80 offset1:248
	v_add_u32_e32 v1, 0x1400, v0
	ds_read2_b64 v[16:19], v1 offset0:32 offset1:200
	;; [unrolled: 2-line block ×3, first 2 shown]
	v_add_u32_e32 v1, 0x2800, v0
	ds_read2_b64 v[4:7], v0 offset1:168
	ds_read2_b64 v[12:15], v1 offset0:64 offset1:232
	ds_read_b64 v[48:49], v0 offset:13440
	s_waitcnt lgkmcnt(4)
	v_mov_b32_e32 v63, v17
	v_mov_b32_e32 v62, v16
.LBB0_19:
	s_or_b64 exec, exec, s[6:7]
	v_add_f64 v[16:17], v[26:27], v[30:31]
	v_add_f64 v[24:25], v[24:25], -v[28:29]
	s_mov_b32 s6, 0xe8584caa
	s_mov_b32 s7, 0x3febb67a
	;; [unrolled: 1-line block ×4, first 2 shown]
	v_add_f64 v[0:1], v[26:27], v[2:3]
	s_waitcnt lgkmcnt(0)
	v_fma_f64 v[16:17], v[16:17], -0.5, v[2:3]
	s_barrier
	v_add_f64 v[0:1], v[30:31], v[0:1]
	v_add_f64 v[30:31], v[36:37], -v[32:33]
	v_fma_f64 v[2:3], v[24:25], s[6:7], v[16:17]
	v_fma_f64 v[24:25], v[24:25], s[8:9], v[16:17]
	v_add_f64 v[16:17], v[38:39], v[50:51]
	v_add_f64 v[36:37], v[44:45], -v[52:53]
	ds_write2_b64 v59, v[0:1], v[2:3] offset1:1
	ds_write_b64 v59, v[24:25] offset:16
	v_add_f64 v[26:27], v[34:35], v[16:17]
	v_add_f64 v[16:17], v[34:35], v[38:39]
	v_fma_f64 v[16:17], v[16:17], -0.5, v[50:51]
	v_fma_f64 v[28:29], v[30:31], s[6:7], v[16:17]
	v_fma_f64 v[30:31], v[30:31], s[8:9], v[16:17]
	v_add_f64 v[16:17], v[42:43], v[46:47]
	v_add_f64 v[32:33], v[54:55], v[16:17]
	;; [unrolled: 1-line block ×3, first 2 shown]
	v_fma_f64 v[16:17], v[16:17], -0.5, v[42:43]
	v_fma_f64 v[34:35], v[36:37], s[6:7], v[16:17]
	v_fma_f64 v[36:37], v[36:37], s[8:9], v[16:17]
	v_add_u32_e32 v16, 0x15a8, v59
	ds_write2_b64 v16, v[26:27], v[28:29] offset1:1
	ds_write_b64 v59, v[30:31] offset:5560
	s_and_saveexec_b64 s[6:7], s[2:3]
	s_cbranch_execz .LBB0_21
; %bb.20:
	v_add_u32_e32 v16, 0x2b50, v59
	ds_write2_b64 v16, v[32:33], v[34:35] offset1:1
	ds_write_b64 v59, v[36:37] offset:11104
.LBB0_21:
	s_or_b64 exec, exec, s[6:7]
	s_waitcnt lgkmcnt(0)
	s_barrier
	s_waitcnt lgkmcnt(0)
                                        ; implicit-def: $vgpr50_vgpr51
	s_and_saveexec_b64 s[2:3], vcc
	s_cbranch_execz .LBB0_23
; %bb.22:
	v_sub_u32_e32 v16, v59, v40
	v_add_u32_e32 v17, 0x800, v16
	ds_read2_b64 v[24:27], v17 offset0:80 offset1:248
	v_add_u32_e32 v17, 0x1400, v16
	ds_read2_b64 v[28:31], v17 offset0:32 offset1:200
	v_add_u32_e32 v17, 0x1e00, v16
	ds_read2_b64 v[32:35], v17 offset0:48 offset1:216
	v_add_u32_e32 v17, 0x2800, v16
	ds_read2_b64 v[0:3], v16 offset1:168
	ds_read2_b64 v[36:39], v17 offset0:64 offset1:232
	ds_read_b64 v[50:51], v16 offset:13440
.LBB0_23:
	s_or_b64 exec, exec, s[2:3]
	s_movk_i32 s2, 0xab
	v_mul_lo_u16_sdwa v16, v58, s2 dst_sel:DWORD dst_unused:UNUSED_PAD src0_sel:BYTE_0 src1_sel:DWORD
	v_lshrrev_b16_e32 v59, 9, v16
	v_mul_lo_u16_e32 v16, 3, v59
	v_sub_u16_e32 v125, v58, v16
	v_mov_b32_e32 v16, 10
	v_mul_u32_u24_sdwa v16, v125, v16 dst_sel:DWORD dst_unused:UNUSED_PAD src0_sel:BYTE_0 src1_sel:DWORD
	v_lshlrev_b32_e32 v16, 4, v16
	global_load_dwordx4 v[40:43], v16, s[12:13] offset:16
	global_load_dwordx4 v[44:47], v16, s[12:13] offset:64
	;; [unrolled: 1-line block ×8, first 2 shown]
	global_load_dwordx4 v[90:93], v16, s[12:13]
	global_load_dwordx4 v[94:97], v16, s[12:13] offset:48
	s_mov_b32 s24, 0xbb3a28a1
	s_mov_b32 s18, 0x43842ef
	;; [unrolled: 1-line block ×22, first 2 shown]
	s_waitcnt vmcnt(0) lgkmcnt(0)
	s_barrier
	v_mul_f64 v[16:17], v[24:25], v[42:43]
	v_mul_f64 v[52:53], v[30:31], v[46:47]
	;; [unrolled: 1-line block ×15, first 2 shown]
	v_fma_f64 v[68:69], v[8:9], v[40:41], v[16:17]
	v_fma_f64 v[16:17], v[18:19], v[44:45], v[52:53]
	;; [unrolled: 1-line block ×3, first 2 shown]
	v_fma_f64 v[20:21], v[50:51], v[86:87], -v[88:89]
	v_fma_f64 v[50:51], v[2:3], v[90:91], -v[92:93]
	v_mul_f64 v[54:55], v[18:19], v[46:47]
	v_mul_f64 v[106:107], v[26:27], v[84:85]
	;; [unrolled: 1-line block ×5, first 2 shown]
	v_fma_f64 v[46:47], v[24:25], v[40:41], -v[42:43]
	v_fma_f64 v[42:43], v[32:33], v[64:65], -v[66:67]
	;; [unrolled: 1-line block ×3, first 2 shown]
	v_fma_f64 v[64:65], v[12:13], v[74:75], v[102:103]
	v_fma_f64 v[36:37], v[36:37], v[74:75], -v[76:77]
	v_fma_f64 v[72:73], v[48:49], v[86:87], v[108:109]
	v_fma_f64 v[74:75], v[6:7], v[90:91], v[110:111]
	v_fma_f64 v[34:35], v[38:39], v[78:79], -v[80:81]
	v_add_f64 v[116:117], v[50:51], -v[20:21]
	v_fma_f64 v[44:45], v[30:31], v[44:45], -v[54:55]
	v_fma_f64 v[54:55], v[22:23], v[70:71], v[100:101]
	v_fma_f64 v[70:71], v[14:15], v[78:79], v[104:105]
	v_fma_f64 v[48:49], v[26:27], v[82:83], -v[84:85]
	v_fma_f64 v[38:39], v[28:29], v[94:95], -v[96:97]
	v_add_f64 v[104:105], v[74:75], v[72:73]
	v_add_f64 v[114:115], v[46:47], -v[34:35]
	v_mul_f64 v[84:85], v[116:117], s[22:23]
	v_mul_f64 v[86:87], v[116:117], s[20:21]
	;; [unrolled: 1-line block ×4, first 2 shown]
	v_fma_f64 v[66:67], v[10:11], v[82:83], v[106:107]
	v_fma_f64 v[62:63], v[62:63], v[94:95], v[112:113]
	v_add_f64 v[18:19], v[68:69], v[70:71]
	v_add_f64 v[112:113], v[48:49], -v[36:37]
	v_mul_f64 v[28:29], v[114:115], s[20:21]
	v_mul_f64 v[76:77], v[114:115], s[24:25]
	;; [unrolled: 1-line block ×4, first 2 shown]
	v_fma_f64 v[2:3], v[104:105], s[2:3], -v[84:85]
	v_fma_f64 v[6:7], v[104:105], s[6:7], -v[86:87]
	v_fma_f64 v[8:9], v[104:105], s[14:15], -v[96:97]
	v_fma_f64 v[10:11], v[104:105], s[8:9], -v[92:93]
	s_mov_b32 s21, 0x3fed1bb4
	v_add_f64 v[12:13], v[66:67], v[64:65]
	v_add_f64 v[110:111], v[38:39], -v[40:41]
	v_mul_f64 v[26:27], v[112:113], s[18:19]
	v_mul_f64 v[32:33], v[112:113], s[28:29]
	;; [unrolled: 1-line block ×4, first 2 shown]
	v_fma_f64 v[118:119], v[18:19], s[6:7], -v[28:29]
	v_fma_f64 v[120:121], v[18:19], s[8:9], -v[76:77]
	v_fma_f64 v[122:123], v[18:19], s[16:17], -v[90:91]
	v_fma_f64 v[126:127], v[18:19], s[14:15], -v[94:95]
	v_add_f64 v[2:3], v[4:5], v[2:3]
	v_add_f64 v[6:7], v[4:5], v[6:7]
	;; [unrolled: 1-line block ×4, first 2 shown]
	s_mov_b32 s29, 0xbfd207e7
	v_add_f64 v[22:23], v[62:63], v[54:55]
	v_add_f64 v[100:101], v[44:45], -v[42:43]
	v_mul_f64 v[14:15], v[110:111], s[24:25]
	v_mul_f64 v[24:25], v[110:111], s[26:27]
	;; [unrolled: 1-line block ×4, first 2 shown]
	v_fma_f64 v[128:129], v[12:13], s[14:15], -v[26:27]
	v_fma_f64 v[130:131], v[12:13], s[16:17], -v[32:33]
	;; [unrolled: 1-line block ×4, first 2 shown]
	v_add_f64 v[2:3], v[118:119], v[2:3]
	v_add_f64 v[6:7], v[120:121], v[6:7]
	v_add_f64 v[8:9], v[122:123], v[8:9]
	v_add_f64 v[10:11], v[126:127], v[10:11]
	s_mov_b32 s23, 0x3fe14ced
	v_add_f64 v[88:89], v[16:17], v[52:53]
	v_mul_f64 v[80:81], v[100:101], s[24:25]
	v_mul_f64 v[78:79], v[100:101], s[28:29]
	;; [unrolled: 1-line block ×4, first 2 shown]
	v_fma_f64 v[118:119], v[22:23], s[8:9], -v[14:15]
	v_fma_f64 v[120:121], v[22:23], s[14:15], -v[24:25]
	;; [unrolled: 1-line block ×4, first 2 shown]
	v_add_f64 v[2:3], v[128:129], v[2:3]
	v_add_f64 v[6:7], v[130:131], v[6:7]
	;; [unrolled: 1-line block ×4, first 2 shown]
	v_fma_f64 v[128:129], v[88:89], s[8:9], -v[80:81]
	v_fma_f64 v[130:131], v[88:89], s[16:17], -v[78:79]
	;; [unrolled: 1-line block ×4, first 2 shown]
	v_add_f64 v[2:3], v[118:119], v[2:3]
	v_add_f64 v[118:119], v[120:121], v[6:7]
	;; [unrolled: 1-line block ×8, first 2 shown]
	s_and_saveexec_b64 s[26:27], vcc
	s_cbranch_execz .LBB0_25
; %bb.24:
	v_mul_f64 v[116:117], v[116:117], s[28:29]
	v_mul_f64 v[114:115], v[114:115], s[22:23]
	;; [unrolled: 1-line block ×7, first 2 shown]
	v_add_f64 v[138:139], v[4:5], v[74:75]
	v_fma_f64 v[132:133], v[104:105], s[16:17], v[116:117]
	v_fma_f64 v[104:105], v[104:105], s[16:17], -v[116:117]
	v_fma_f64 v[116:117], v[18:19], s[2:3], v[114:115]
	v_mul_f64 v[128:129], v[18:19], s[6:7]
	v_mul_f64 v[130:131], v[18:19], s[8:9]
	;; [unrolled: 1-line block ×5, first 2 shown]
	v_add_f64 v[132:133], v[4:5], v[132:133]
	v_fma_f64 v[18:19], v[18:19], s[2:3], -v[114:115]
	v_fma_f64 v[114:115], v[12:13], s[8:9], v[112:113]
	v_add_f64 v[104:105], v[4:5], v[104:105]
	v_add_f64 v[138:139], v[138:139], v[68:69]
	v_mul_f64 v[144:145], v[12:13], s[14:15]
	v_mul_f64 v[146:147], v[12:13], s[16:17]
	;; [unrolled: 1-line block ×3, first 2 shown]
	v_add_f64 v[116:117], v[116:117], v[132:133]
	v_mul_f64 v[132:133], v[12:13], s[6:7]
	v_fma_f64 v[12:13], v[12:13], s[8:9], -v[112:113]
	v_fma_f64 v[112:113], v[22:23], s[6:7], v[110:111]
	v_add_f64 v[18:19], v[18:19], v[104:105]
	v_add_f64 v[84:85], v[118:119], v[84:85]
	;; [unrolled: 1-line block ×18, first 2 shown]
	v_mul_f64 v[150:151], v[22:23], s[8:9]
	v_add_f64 v[26:27], v[144:145], v[26:27]
	v_add_f64 v[28:29], v[28:29], v[84:85]
	;; [unrolled: 1-line block ×3, first 2 shown]
	v_mul_f64 v[142:143], v[22:23], s[16:17]
	v_mul_f64 v[114:115], v[22:23], s[14:15]
	v_mul_f64 v[100:101], v[100:101], s[18:19]
	v_fma_f64 v[110:111], v[22:23], s[6:7], -v[110:111]
	v_mul_f64 v[22:23], v[22:23], s[2:3]
	v_add_f64 v[92:93], v[132:133], v[98:99]
	v_add_f64 v[90:91], v[90:91], v[96:97]
	;; [unrolled: 1-line block ×7, first 2 shown]
	v_mul_f64 v[104:105], v[88:89], s[16:17]
	v_add_f64 v[14:15], v[150:151], v[14:15]
	v_add_f64 v[26:27], v[26:27], v[28:29]
	;; [unrolled: 1-line block ×3, first 2 shown]
	v_mul_f64 v[140:141], v[88:89], s[6:7]
	v_mul_f64 v[116:117], v[88:89], s[2:3]
	v_fma_f64 v[122:123], v[88:89], s[14:15], -v[100:101]
	v_fma_f64 v[100:101], v[88:89], s[14:15], v[100:101]
	v_mul_f64 v[88:89], v[88:89], s[8:9]
	v_add_f64 v[22:23], v[22:23], v[30:31]
	v_add_f64 v[30:31], v[92:93], v[90:91]
	;; [unrolled: 1-line block ×22, first 2 shown]
	v_mov_b32_e32 v29, 3
	v_add_f64 v[4:5], v[108:109], v[4:5]
	v_add_f64 v[12:13], v[122:123], v[12:13]
	v_mul_u32_u24_e32 v28, 0x108, v59
	v_lshlrev_b32_sdwa v29, v29, v125 dst_sel:DWORD dst_unused:UNUSED_PAD src0_sel:DWORD src1_sel:BYTE_0
	v_add3_u32 v28, 0, v28, v29
	ds_write2_b64 v28, v[26:27], v[14:15] offset1:3
	ds_write2_b64 v28, v[24:25], v[22:23] offset0:6 offset1:9
	ds_write2_b64 v28, v[4:5], v[18:19] offset0:12 offset1:15
	ds_write2_b64 v28, v[12:13], v[2:3] offset0:18 offset1:21
	ds_write2_b64 v28, v[10:11], v[8:9] offset0:24 offset1:27
	ds_write_b64 v28, v[6:7] offset:240
.LBB0_25:
	s_or_b64 exec, exec, s[26:27]
	v_lshl_add_u32 v124, v58, 3, 0
	s_waitcnt lgkmcnt(0)
	s_barrier
	ds_read_b64 v[18:19], v124
	ds_read_b64 v[30:31], v124 offset:2112
	ds_read_b64 v[26:27], v124 offset:4224
	;; [unrolled: 1-line block ×6, first 2 shown]
	v_cmp_gt_u32_e64 s[2:3], 33, v58
                                        ; implicit-def: $vgpr4_vgpr5
                                        ; implicit-def: $vgpr12_vgpr13
                                        ; implicit-def: $vgpr14_vgpr15
	s_and_saveexec_b64 s[6:7], s[2:3]
	s_cbranch_execz .LBB0_27
; %bb.26:
	ds_read_b64 v[2:3], v124 offset:1848
	ds_read_b64 v[10:11], v124 offset:3960
	;; [unrolled: 1-line block ×7, first 2 shown]
.LBB0_27:
	s_or_b64 exec, exec, s[6:7]
	v_add_f64 v[76:77], v[50:51], v[20:21]
	s_mov_b32 s20, 0x8764f0ba
	s_mov_b32 s21, 0x3feaeb8c
	v_add_f64 v[72:73], v[74:75], -v[72:73]
	s_mov_b32 s18, 0xf8bb580b
	s_mov_b32 s14, 0xd9c712b6
	;; [unrolled: 1-line block ×4, first 2 shown]
	v_mul_f64 v[74:75], v[76:77], s[20:21]
	v_mul_f64 v[78:79], v[76:77], s[14:15]
	v_add_f64 v[88:89], v[46:47], v[34:35]
	s_mov_b32 s8, 0x8eee2c13
	s_mov_b32 s6, 0x640f44db
	;; [unrolled: 1-line block ×5, first 2 shown]
	v_fma_f64 v[84:85], v[72:73], s[18:19], v[74:75]
	s_mov_b32 s27, 0xbfe4f49e
	v_mul_f64 v[80:81], v[76:77], s[6:7]
	v_mul_f64 v[82:83], v[76:77], s[26:27]
	v_fma_f64 v[86:87], v[72:73], s[8:9], v[78:79]
	v_add_f64 v[68:69], v[68:69], -v[70:71]
	v_mul_f64 v[70:71], v[88:89], s[14:15]
	v_add_f64 v[122:123], v[48:49], v[36:37]
	v_add_f64 v[92:93], v[0:1], v[84:85]
	v_mul_f64 v[84:85], v[88:89], s[26:27]
	s_mov_b32 s16, 0x43842ef
	s_mov_b32 s36, 0x9bcd5057
	;; [unrolled: 1-line block ×4, first 2 shown]
	v_fma_f64 v[90:91], v[72:73], s[16:17], v[80:81]
	v_fma_f64 v[94:95], v[72:73], s[24:25], v[82:83]
	v_add_f64 v[96:97], v[0:1], v[86:87]
	v_mul_f64 v[86:87], v[88:89], s[36:37]
	v_fma_f64 v[98:99], v[68:69], s[8:9], v[70:71]
	v_fma_f64 v[100:101], v[68:69], s[24:25], v[84:85]
	v_mul_f64 v[108:109], v[88:89], s[6:7]
	v_add_f64 v[64:65], v[66:67], -v[64:65]
	v_mul_f64 v[110:111], v[122:123], s[6:7]
	s_mov_b32 s34, 0xfd768dbf
	s_mov_b32 s35, 0x3fd207e7
	;; [unrolled: 1-line block ×4, first 2 shown]
	v_add_f64 v[90:91], v[0:1], v[90:91]
	v_add_f64 v[94:95], v[0:1], v[94:95]
	v_fma_f64 v[102:103], v[68:69], s[34:35], v[86:87]
	v_fma_f64 v[66:67], v[68:69], s[22:23], v[108:109]
	v_add_f64 v[98:99], v[98:99], v[92:93]
	v_mul_f64 v[120:121], v[122:123], s[36:37]
	v_add_f64 v[104:105], v[100:101], v[96:97]
	v_mul_f64 v[116:117], v[122:123], s[14:15]
	v_fma_f64 v[96:97], v[64:65], s[16:17], v[110:111]
	v_mul_f64 v[114:115], v[122:123], s[20:21]
	v_add_f64 v[92:93], v[38:39], v[40:41]
	s_mov_b32 s29, 0x3fed1bb4
	s_mov_b32 s28, s8
	v_add_f64 v[90:91], v[102:103], v[90:91]
	v_add_f64 v[94:95], v[66:67], v[94:95]
	v_fma_f64 v[106:107], v[64:65], s[34:35], v[120:121]
	v_fma_f64 v[112:113], v[64:65], s[28:29], v[116:117]
	v_add_f64 v[118:119], v[96:97], v[98:99]
	v_fma_f64 v[98:99], v[64:65], s[18:19], v[114:115]
	v_add_f64 v[66:67], v[62:63], -v[54:55]
	v_mul_f64 v[96:97], v[92:93], s[26:27]
	v_mul_f64 v[100:101], v[92:93], s[6:7]
	;; [unrolled: 1-line block ×3, first 2 shown]
	v_add_f64 v[54:55], v[106:107], v[104:105]
	v_add_f64 v[62:63], v[112:113], v[90:91]
	v_mul_f64 v[106:107], v[92:93], s[36:37]
	v_add_f64 v[126:127], v[98:99], v[94:95]
	v_add_f64 v[94:95], v[44:45], v[42:43]
	v_fma_f64 v[104:105], v[66:67], s[24:25], v[96:97]
	v_fma_f64 v[112:113], v[66:67], s[22:23], v[100:101]
	s_mov_b32 s39, 0xbfd207e7
	s_mov_b32 s38, s34
	v_fma_f64 v[128:129], v[66:67], s[18:19], v[102:103]
	v_fma_f64 v[130:131], v[66:67], s[38:39], v[106:107]
	v_add_f64 v[90:91], v[16:17], -v[52:53]
	v_mul_f64 v[98:99], v[94:95], s[36:37]
	v_add_f64 v[16:17], v[104:105], v[118:119]
	v_add_f64 v[54:55], v[112:113], v[54:55]
	v_mul_f64 v[104:105], v[94:95], s[20:21]
	v_mul_f64 v[112:113], v[94:95], s[26:27]
	v_mul_f64 v[118:119], v[94:95], s[14:15]
	s_mov_b32 s41, 0x3fe14ced
	s_mov_b32 s40, s18
	v_add_f64 v[62:63], v[128:129], v[62:63]
	v_add_f64 v[126:127], v[130:131], v[126:127]
	v_fma_f64 v[52:53], v[90:91], s[38:39], v[98:99]
	v_fma_f64 v[128:129], v[90:91], s[40:41], v[104:105]
	;; [unrolled: 1-line block ×4, first 2 shown]
	s_waitcnt lgkmcnt(0)
	s_barrier
	v_add_f64 v[52:53], v[52:53], v[16:17]
	v_add_f64 v[54:55], v[128:129], v[54:55]
	;; [unrolled: 1-line block ×4, first 2 shown]
	s_and_saveexec_b64 s[30:31], vcc
	s_cbranch_execz .LBB0_29
; %bb.28:
	v_add_f64 v[50:51], v[0:1], v[50:51]
	v_mul_f64 v[126:127], v[72:73], s[18:19]
	v_mul_f64 v[128:129], v[72:73], s[8:9]
	v_mul_f64 v[130:131], v[72:73], s[16:17]
	v_mul_f64 v[132:133], v[72:73], s[24:25]
	v_mul_f64 v[76:77], v[76:77], s[36:37]
	v_mul_f64 v[134:135], v[68:69], s[8:9]
	v_mul_f64 v[136:137], v[68:69], s[24:25]
	v_add_f64 v[46:47], v[50:51], v[46:47]
	v_add_f64 v[74:75], v[74:75], -v[126:127]
	v_add_f64 v[78:79], v[78:79], -v[128:129]
	v_mul_f64 v[138:139], v[68:69], s[34:35]
	v_add_f64 v[80:81], v[80:81], -v[130:131]
	v_mul_f64 v[50:51], v[68:69], s[22:23]
	;; [unrolled: 2-line block ×3, first 2 shown]
	v_add_f64 v[46:47], v[46:47], v[48:49]
	v_mul_f64 v[142:143], v[64:65], s[34:35]
	v_add_f64 v[70:71], v[70:71], -v[134:135]
	v_add_f64 v[74:75], v[0:1], v[74:75]
	v_add_f64 v[78:79], v[0:1], v[78:79]
	v_mul_f64 v[144:145], v[64:65], s[28:29]
	v_add_f64 v[80:81], v[0:1], v[80:81]
	v_mul_f64 v[146:147], v[64:65], s[18:19]
	;; [unrolled: 2-line block ×3, first 2 shown]
	v_mul_f64 v[88:89], v[122:123], s[26:27]
	v_fma_f64 v[122:123], v[72:73], s[34:35], v[76:77]
	v_add_f64 v[50:51], v[108:109], -v[50:51]
	v_add_f64 v[82:83], v[0:1], v[82:83]
	v_mul_f64 v[148:149], v[66:67], s[24:25]
	v_mul_f64 v[150:151], v[66:67], s[22:23]
	v_add_f64 v[38:39], v[38:39], v[44:45]
	v_fma_f64 v[44:45], v[72:73], s[38:39], v[76:77]
	v_add_f64 v[72:73], v[84:85], -v[136:137]
	v_add_f64 v[76:77], v[86:87], -v[138:139]
	v_fma_f64 v[84:85], v[68:69], s[18:19], v[46:47]
	v_fma_f64 v[46:47], v[68:69], s[40:41], v[46:47]
	v_add_f64 v[86:87], v[0:1], v[122:123]
	v_add_f64 v[68:69], v[120:121], -v[142:143]
	v_add_f64 v[38:39], v[38:39], v[42:43]
	v_add_f64 v[0:1], v[0:1], v[44:45]
	v_add_f64 v[42:43], v[110:111], -v[140:141]
	v_add_f64 v[44:45], v[70:71], v[74:75]
	v_add_f64 v[70:71], v[72:73], v[78:79]
	v_mul_f64 v[48:49], v[66:67], s[18:19]
	v_add_f64 v[72:73], v[76:77], v[80:81]
	s_mov_b32 s19, 0x3fe82f19
	v_add_f64 v[38:39], v[38:39], v[40:41]
	v_add_f64 v[40:41], v[116:117], -v[144:145]
	s_mov_b32 s18, s24
	v_mul_f64 v[152:153], v[66:67], s[38:39]
	v_add_f64 v[50:51], v[50:51], v[82:83]
	v_add_f64 v[74:75], v[84:85], v[86:87]
	v_fma_f64 v[76:77], v[64:65], s[18:19], v[88:89]
	v_add_f64 v[0:1], v[46:47], v[0:1]
	v_add_f64 v[36:37], v[38:39], v[36:37]
	v_add_f64 v[38:39], v[114:115], -v[146:147]
	v_fma_f64 v[46:47], v[64:65], s[24:25], v[88:89]
	v_mul_f64 v[64:65], v[92:93], s[14:15]
	v_add_f64 v[42:43], v[42:43], v[44:45]
	v_add_f64 v[44:45], v[68:69], v[70:71]
	v_add_f64 v[68:69], v[96:97], -v[148:149]
	v_add_f64 v[70:71], v[100:101], -v[150:151]
	v_mul_f64 v[154:155], v[90:91], s[38:39]
	v_add_f64 v[40:41], v[40:41], v[72:73]
	v_add_f64 v[48:49], v[102:103], -v[48:49]
	v_mul_f64 v[156:157], v[90:91], s[40:41]
	v_mul_f64 v[158:159], v[90:91], s[24:25]
	v_add_f64 v[38:39], v[38:39], v[50:51]
	v_add_f64 v[50:51], v[76:77], v[74:75]
	;; [unrolled: 1-line block ×3, first 2 shown]
	v_add_f64 v[46:47], v[106:107], -v[152:153]
	v_fma_f64 v[72:73], v[66:67], s[8:9], v[64:65]
	v_fma_f64 v[64:65], v[66:67], s[28:29], v[64:65]
	v_mul_f64 v[160:161], v[90:91], s[28:29]
	v_add_f64 v[34:35], v[36:37], v[34:35]
	v_add_f64 v[36:37], v[68:69], v[42:43]
	;; [unrolled: 1-line block ×3, first 2 shown]
	v_mul_f64 v[44:45], v[94:95], s[6:7]
	v_add_f64 v[40:41], v[48:49], v[40:41]
	v_add_f64 v[48:49], v[98:99], -v[154:155]
	v_add_f64 v[38:39], v[46:47], v[38:39]
	v_add_f64 v[46:47], v[72:73], v[50:51]
	;; [unrolled: 1-line block ×3, first 2 shown]
	v_add_f64 v[50:51], v[104:105], -v[156:157]
	v_add_f64 v[64:65], v[112:113], -v[158:159]
	;; [unrolled: 1-line block ×3, first 2 shown]
	v_fma_f64 v[68:69], v[90:91], s[22:23], v[44:45]
	v_fma_f64 v[44:45], v[90:91], s[16:17], v[44:45]
	v_add_f64 v[20:21], v[34:35], v[20:21]
	v_add_f64 v[34:35], v[48:49], v[36:37]
	;; [unrolled: 1-line block ×7, first 2 shown]
	v_mov_b32_e32 v45, 3
	v_mul_u32_u24_e32 v44, 0x108, v59
	v_lshlrev_b32_sdwa v45, v45, v125 dst_sel:DWORD dst_unused:UNUSED_PAD src0_sel:DWORD src1_sel:BYTE_0
	v_add3_u32 v44, 0, v44, v45
	ds_write2_b64 v44, v[20:21], v[34:35] offset1:3
	ds_write2_b64 v44, v[36:37], v[40:41] offset0:6 offset1:9
	ds_write2_b64 v44, v[38:39], v[42:43] offset0:12 offset1:15
	;; [unrolled: 1-line block ×4, first 2 shown]
	ds_write_b64 v44, v[52:53] offset:240
.LBB0_29:
	s_or_b64 exec, exec, s[30:31]
	s_waitcnt lgkmcnt(0)
	s_barrier
	ds_read_b64 v[0:1], v124
	ds_read_b64 v[48:49], v124 offset:2112
	ds_read_b64 v[46:47], v124 offset:4224
	;; [unrolled: 1-line block ×6, first 2 shown]
                                        ; implicit-def: $vgpr20_vgpr21
                                        ; implicit-def: $vgpr34_vgpr35
                                        ; implicit-def: $vgpr36_vgpr37
	s_and_saveexec_b64 s[6:7], s[2:3]
	s_cbranch_execz .LBB0_31
; %bb.30:
	ds_read_b64 v[16:17], v124 offset:1848
	ds_read_b64 v[62:63], v124 offset:3960
	;; [unrolled: 1-line block ×7, first 2 shown]
.LBB0_31:
	s_or_b64 exec, exec, s[6:7]
	s_movk_i32 s6, 0xf9
	v_mul_lo_u16_sdwa v51, v58, s6 dst_sel:DWORD dst_unused:UNUSED_PAD src0_sel:BYTE_0 src1_sel:DWORD
	v_lshrrev_b16_e32 v51, 13, v51
	v_mul_lo_u16_e32 v59, 33, v51
	v_sub_u16_e32 v59, v58, v59
	v_mov_b32_e32 v64, 6
	v_mul_u32_u24_sdwa v64, v59, v64 dst_sel:DWORD dst_unused:UNUSED_PAD src0_sel:BYTE_0 src1_sel:DWORD
	v_lshlrev_b32_e32 v64, 4, v64
	global_load_dwordx4 v[66:69], v64, s[12:13] offset:496
	global_load_dwordx4 v[70:73], v64, s[12:13] offset:480
	;; [unrolled: 1-line block ×6, first 2 shown]
	v_add_u32_e32 v50, 0xe7, v58
	s_mov_b32 s6, 0xf83f
	v_mul_u32_u24_sdwa v64, v50, s6 dst_sel:DWORD dst_unused:UNUSED_PAD src0_sel:WORD_0 src1_sel:DWORD
	v_lshrrev_b32_e32 v64, 21, v64
	v_mul_lo_u16_e32 v64, 33, v64
	v_sub_u16_e32 v131, v50, v64
	v_mul_u32_u24_e32 v50, 6, v131
	v_lshlrev_b32_e32 v50, 4, v50
	global_load_dwordx4 v[92:95], v50, s[12:13] offset:480
	global_load_dwordx4 v[96:99], v50, s[12:13] offset:496
	;; [unrolled: 1-line block ×6, first 2 shown]
	v_mov_b32_e32 v50, 3
	v_mul_u32_u24_e32 v51, 0x738, v51
	v_lshlrev_b32_sdwa v50, v50, v59 dst_sel:DWORD dst_unused:UNUSED_PAD src0_sel:DWORD src1_sel:BYTE_0
	v_add3_u32 v59, 0, v51, v50
	s_mov_b32 s8, 0x37e14327
	s_mov_b32 s16, 0xe976ee23
	;; [unrolled: 1-line block ×20, first 2 shown]
	s_waitcnt vmcnt(0) lgkmcnt(0)
	s_barrier
	v_mul_f64 v[50:51], v[48:49], v[72:73]
	v_mul_f64 v[64:65], v[30:31], v[72:73]
	;; [unrolled: 1-line block ×12, first 2 shown]
	v_fma_f64 v[50:51], v[30:31], v[70:71], v[50:51]
	v_fma_f64 v[64:65], v[48:49], v[70:71], -v[64:65]
	v_fma_f64 v[48:49], v[26:27], v[66:67], v[72:73]
	v_fma_f64 v[66:67], v[46:47], v[66:67], -v[68:69]
	v_fma_f64 v[46:47], v[32:33], v[84:85], v[120:121]
	v_fma_f64 v[70:71], v[28:29], v[88:89], v[118:119]
	v_fma_f64 v[68:69], v[24:25], v[80:81], v[74:75]
	v_fma_f64 v[42:43], v[42:43], v[80:81], -v[82:83]
	v_fma_f64 v[74:75], v[44:45], v[88:89], -v[90:91]
	v_fma_f64 v[44:45], v[22:23], v[76:77], v[116:117]
	v_fma_f64 v[72:73], v[38:39], v[76:77], -v[78:79]
	v_fma_f64 v[76:77], v[40:41], v[84:85], -v[86:87]
	v_add_f64 v[28:29], v[50:51], v[46:47]
	v_add_f64 v[30:31], v[48:49], v[70:71]
	v_mul_f64 v[122:123], v[62:63], v[94:95]
	v_mul_f64 v[94:95], v[10:11], v[94:95]
	v_add_f64 v[26:27], v[66:67], -v[74:75]
	v_add_f64 v[32:33], v[68:69], v[44:45]
	v_add_f64 v[78:79], v[72:73], -v[42:43]
	v_add_f64 v[82:83], v[64:65], -v[76:77]
	v_mul_f64 v[125:126], v[54:55], v[98:99]
	v_add_f64 v[84:85], v[30:31], v[28:29]
	v_fma_f64 v[22:23], v[10:11], v[92:93], v[122:123]
	v_fma_f64 v[24:25], v[62:63], v[92:93], -v[94:95]
	v_mul_f64 v[98:99], v[8:9], v[98:99]
	v_add_f64 v[10:11], v[28:29], -v[32:33]
	v_add_f64 v[90:91], v[78:79], -v[26:27]
	;; [unrolled: 1-line block ×3, first 2 shown]
	v_add_f64 v[92:93], v[78:79], v[26:27]
	v_add_f64 v[84:85], v[32:33], v[84:85]
	v_add_f64 v[32:33], v[32:33], -v[30:31]
	v_add_f64 v[78:79], v[82:83], -v[78:79]
	v_fma_f64 v[26:27], v[8:9], v[96:97], v[125:126]
	v_mul_f64 v[10:11], v[10:11], s[8:9]
	v_mul_f64 v[90:91], v[90:91], s[16:17]
	;; [unrolled: 1-line block ×4, first 2 shown]
	v_add_f64 v[94:95], v[18:19], v[84:85]
	v_add_f64 v[18:19], v[30:31], -v[28:29]
	v_mul_f64 v[28:29], v[32:33], s[6:7]
	v_add_f64 v[30:31], v[92:93], v[82:83]
	v_fma_f64 v[32:33], v[32:33], s[6:7], v[10:11]
	v_fma_f64 v[82:83], v[78:79], s[24:25], v[90:91]
	v_fma_f64 v[62:63], v[62:63], s[14:15], -v[90:91]
	v_fma_f64 v[8:9], v[78:79], s[28:29], -v[8:9]
	v_fma_f64 v[78:79], v[84:85], s[18:19], v[94:95]
	v_fma_f64 v[10:11], v[18:19], s[22:23], -v[10:11]
	v_fma_f64 v[84:85], v[18:19], s[20:21], -v[28:29]
	v_mul_f64 v[102:103], v[6:7], v[102:103]
	v_mul_f64 v[38:39], v[14:15], v[106:107]
	;; [unrolled: 1-line block ×3, first 2 shown]
	v_fma_f64 v[28:29], v[54:55], v[96:97], -v[98:99]
	v_fma_f64 v[18:19], v[6:7], v[100:101], v[127:128]
	v_fma_f64 v[6:7], v[30:31], s[26:27], v[82:83]
	;; [unrolled: 1-line block ×3, first 2 shown]
	v_add_f64 v[62:63], v[32:33], v[78:79]
	v_mul_f64 v[129:130], v[36:37], v[106:107]
	v_mul_f64 v[80:81], v[12:13], v[110:111]
	;; [unrolled: 1-line block ×4, first 2 shown]
	v_fma_f64 v[8:9], v[30:31], s[26:27], v[8:9]
	v_add_f64 v[10:11], v[10:11], v[78:79]
	v_add_f64 v[78:79], v[84:85], v[78:79]
	v_fma_f64 v[36:37], v[36:37], v[104:105], -v[38:39]
	v_fma_f64 v[38:39], v[12:13], v[108:109], v[40:41]
	v_add_f64 v[12:13], v[6:7], v[62:63]
	v_fma_f64 v[30:31], v[52:53], v[100:101], -v[102:103]
	v_fma_f64 v[32:33], v[14:15], v[104:105], v[129:130]
	v_fma_f64 v[34:35], v[34:35], v[108:109], -v[80:81]
	v_add_f64 v[14:15], v[8:9], v[10:11]
	v_add_f64 v[52:53], v[78:79], -v[54:55]
	v_fma_f64 v[40:41], v[4:5], v[112:113], v[86:87]
	v_fma_f64 v[20:21], v[20:21], v[112:113], -v[88:89]
	v_add_f64 v[54:55], v[54:55], v[78:79]
	v_add_f64 v[8:9], v[10:11], -v[8:9]
	v_add_f64 v[6:7], v[62:63], -v[6:7]
	ds_write2_b64 v59, v[94:95], v[12:13] offset1:33
	ds_write2_b64 v59, v[14:15], v[52:53] offset0:66 offset1:99
	ds_write2_b64 v59, v[54:55], v[8:9] offset0:132 offset1:165
	ds_write_b64 v59, v[6:7] offset:1584
	v_lshl_add_u32 v52, v131, 3, 0
	s_and_saveexec_b64 s[30:31], s[2:3]
	s_cbranch_execz .LBB0_33
; %bb.32:
	v_add_f64 v[4:5], v[26:27], v[38:39]
	v_add_f64 v[6:7], v[22:23], v[40:41]
	v_add_f64 v[8:9], v[36:37], -v[30:31]
	v_add_f64 v[10:11], v[28:29], -v[34:35]
	v_add_f64 v[12:13], v[18:19], v[32:33]
	v_add_f64 v[14:15], v[24:25], -v[20:21]
	v_add_f64 v[53:54], v[4:5], v[6:7]
	v_add_f64 v[62:63], v[8:9], -v[10:11]
	v_add_f64 v[78:79], v[6:7], -v[12:13]
	;; [unrolled: 1-line block ×4, first 2 shown]
	v_add_f64 v[10:11], v[8:9], v[10:11]
	v_add_f64 v[8:9], v[14:15], -v[8:9]
	v_add_f64 v[12:13], v[12:13], v[53:54]
	v_add_f64 v[4:5], v[4:5], -v[6:7]
	v_mul_f64 v[6:7], v[62:63], s[16:17]
	v_mul_f64 v[53:54], v[78:79], s[8:9]
	;; [unrolled: 1-line block ×4, first 2 shown]
	v_add_f64 v[10:11], v[10:11], v[14:15]
	v_add_f64 v[2:3], v[2:3], v[12:13]
	v_fma_f64 v[14:15], v[8:9], s[24:25], v[6:7]
	v_fma_f64 v[84:85], v[4:5], s[22:23], -v[53:54]
	v_fma_f64 v[8:9], v[8:9], s[28:29], -v[62:63]
	;; [unrolled: 1-line block ×4, first 2 shown]
	v_fma_f64 v[53:54], v[82:83], s[6:7], v[53:54]
	v_fma_f64 v[12:13], v[12:13], s[18:19], v[2:3]
	;; [unrolled: 1-line block ×5, first 2 shown]
	v_add_f64 v[10:11], v[84:85], v[12:13]
	v_add_f64 v[4:5], v[4:5], v[12:13]
	;; [unrolled: 1-line block ×3, first 2 shown]
	v_add_f64 v[53:54], v[10:11], -v[8:9]
	v_add_f64 v[62:63], v[4:5], -v[6:7]
	v_add_f64 v[78:79], v[14:15], v[12:13]
	v_add_f64 v[8:9], v[8:9], v[10:11]
	;; [unrolled: 1-line block ×3, first 2 shown]
	v_add_f64 v[6:7], v[12:13], -v[14:15]
	v_add_u32_e32 v10, 0x3000, v52
	ds_write2_b64 v10, v[2:3], v[78:79] offset0:81 offset1:114
	ds_write2_b64 v10, v[8:9], v[62:63] offset0:147 offset1:180
	;; [unrolled: 1-line block ×3, first 2 shown]
	ds_write_b64 v52, v[6:7] offset:14520
.LBB0_33:
	s_or_b64 exec, exec, s[30:31]
	v_add_f64 v[2:3], v[64:65], v[76:77]
	v_add_f64 v[4:5], v[66:67], v[74:75]
	v_add_f64 v[6:7], v[48:49], -v[70:71]
	v_add_f64 v[8:9], v[42:43], v[72:73]
	v_add_f64 v[10:11], v[44:45], -v[68:69]
	v_add_f64 v[12:13], v[50:51], -v[46:47]
	s_waitcnt lgkmcnt(0)
	s_barrier
	v_add_f64 v[14:15], v[4:5], v[2:3]
	v_add_f64 v[42:43], v[2:3], -v[8:9]
	v_add_f64 v[44:45], v[10:11], -v[6:7]
	;; [unrolled: 1-line block ×3, first 2 shown]
	v_add_f64 v[6:7], v[10:11], v[6:7]
	v_add_f64 v[10:11], v[12:13], -v[10:11]
	v_add_f64 v[14:15], v[8:9], v[14:15]
	v_add_f64 v[8:9], v[8:9], -v[4:5]
	v_mul_f64 v[42:43], v[42:43], s[8:9]
	v_mul_f64 v[44:45], v[44:45], s[16:17]
	;; [unrolled: 1-line block ×3, first 2 shown]
	v_add_f64 v[50:51], v[0:1], v[14:15]
	v_add_f64 v[0:1], v[4:5], -v[2:3]
	v_mul_f64 v[2:3], v[8:9], s[6:7]
	v_add_f64 v[4:5], v[6:7], v[12:13]
	v_fma_f64 v[6:7], v[8:9], s[6:7], v[42:43]
	v_fma_f64 v[8:9], v[10:11], s[24:25], v[44:45]
	v_fma_f64 v[12:13], v[46:47], s[14:15], -v[44:45]
	v_fma_f64 v[10:11], v[10:11], s[28:29], -v[48:49]
	v_fma_f64 v[14:15], v[14:15], s[18:19], v[50:51]
	v_fma_f64 v[42:43], v[0:1], s[22:23], -v[42:43]
	v_fma_f64 v[44:45], v[0:1], s[20:21], -v[2:3]
	ds_read2_b64 v[0:3], v124 offset1:231
	v_fma_f64 v[46:47], v[4:5], s[26:27], v[8:9]
	v_fma_f64 v[12:13], v[4:5], s[26:27], v[12:13]
	;; [unrolled: 1-line block ×3, first 2 shown]
	v_add_f64 v[53:54], v[6:7], v[14:15]
	v_add_f64 v[62:63], v[42:43], v[14:15]
	;; [unrolled: 1-line block ×3, first 2 shown]
	v_add_u32_e32 v42, 0xe00, v124
	v_add_u32_e32 v44, 0x2b00, v124
	;; [unrolled: 1-line block ×3, first 2 shown]
	ds_read2_b64 v[4:7], v42 offset0:14 offset1:245
	ds_read2_b64 v[8:11], v43 offset0:12 offset1:243
	v_add_f64 v[64:65], v[53:54], -v[46:47]
	v_add_f64 v[66:67], v[62:63], -v[48:49]
	v_add_f64 v[68:69], v[12:13], v[14:15]
	v_add_f64 v[70:71], v[14:15], -v[12:13]
	v_add_f64 v[48:49], v[48:49], v[62:63]
	v_add_f64 v[45:46], v[46:47], v[53:54]
	ds_read2_b64 v[12:15], v44 offset0:10 offset1:241
	s_waitcnt lgkmcnt(0)
	s_barrier
	ds_write2_b64 v59, v[50:51], v[64:65] offset1:33
	ds_write2_b64 v59, v[66:67], v[68:69] offset0:66 offset1:99
	ds_write2_b64 v59, v[70:71], v[48:49] offset0:132 offset1:165
	ds_write_b64 v59, v[45:46] offset:1584
	s_and_saveexec_b64 s[6:7], s[2:3]
	s_cbranch_execz .LBB0_35
; %bb.34:
	v_add_f64 v[20:21], v[24:25], v[20:21]
	v_add_f64 v[24:25], v[28:29], v[34:35]
	;; [unrolled: 1-line block ×3, first 2 shown]
	v_add_f64 v[26:27], v[26:27], -v[38:39]
	v_add_f64 v[18:19], v[32:33], -v[18:19]
	;; [unrolled: 1-line block ×3, first 2 shown]
	s_mov_b32 s8, 0x36b3c0b5
	s_mov_b32 s2, 0x37e14327
	;; [unrolled: 1-line block ×3, first 2 shown]
	v_add_f64 v[30:31], v[24:25], v[20:21]
	v_add_f64 v[32:33], v[20:21], -v[28:29]
	s_mov_b32 s3, 0x3fe948f6
	v_add_f64 v[34:35], v[18:19], v[26:27]
	v_add_f64 v[36:37], v[18:19], -v[26:27]
	v_add_f64 v[26:27], v[26:27], -v[22:23]
	s_mov_b32 s14, 0xe976ee23
	v_add_f64 v[20:21], v[24:25], -v[20:21]
	v_add_f64 v[30:31], v[28:29], v[30:31]
	v_add_f64 v[28:29], v[28:29], -v[24:25]
	s_mov_b32 s15, 0x3fe11646
	s_mov_b32 s16, 0x429ad128
	v_mul_f64 v[32:33], v[32:33], s[2:3]
	s_mov_b32 s17, 0xbfebfeb5
	v_add_f64 v[18:19], v[22:23], -v[18:19]
	v_add_f64 v[22:23], v[34:35], v[22:23]
	v_add_f64 v[16:17], v[16:17], v[30:31]
	v_mul_f64 v[24:25], v[28:29], s[8:9]
	v_mul_f64 v[34:35], v[36:37], s[14:15]
	;; [unrolled: 1-line block ×3, first 2 shown]
	s_mov_b32 s3, 0x3fe77f67
	s_mov_b32 s2, 0x5476071b
	v_fma_f64 v[28:29], v[28:29], s[8:9], v[32:33]
	v_fma_f64 v[30:31], v[30:31], s[18:19], v[16:17]
	v_fma_f64 v[24:25], v[20:21], s[2:3], -v[24:25]
	s_mov_b32 s3, 0xbfe77f67
	v_fma_f64 v[20:21], v[20:21], s[2:3], -v[32:33]
	s_mov_b32 s3, 0xbfd5d0dc
	s_mov_b32 s2, 0xb247c609
	v_fma_f64 v[32:33], v[18:19], s[2:3], v[34:35]
	s_mov_b32 s3, 0x3fd5d0dc
	v_fma_f64 v[18:19], v[18:19], s[2:3], -v[36:37]
	v_fma_f64 v[26:27], v[26:27], s[16:17], -v[34:35]
	s_mov_b32 s2, 0x37c3f68c
	s_mov_b32 s3, 0xbfdc38aa
	v_add_f64 v[28:29], v[28:29], v[30:31]
	v_add_f64 v[24:25], v[24:25], v[30:31]
	;; [unrolled: 1-line block ×3, first 2 shown]
	v_fma_f64 v[30:31], v[22:23], s[2:3], v[32:33]
	v_fma_f64 v[18:19], v[22:23], s[2:3], v[18:19]
	;; [unrolled: 1-line block ×3, first 2 shown]
	v_add_f64 v[26:27], v[28:29], -v[30:31]
	v_add_f64 v[32:33], v[20:21], -v[18:19]
	v_add_f64 v[34:35], v[22:23], v[24:25]
	v_add_f64 v[22:23], v[24:25], -v[22:23]
	v_add_f64 v[18:19], v[18:19], v[20:21]
	v_add_f64 v[20:21], v[30:31], v[28:29]
	v_add_u32_e32 v24, 0x3000, v52
	ds_write2_b64 v24, v[16:17], v[26:27] offset0:81 offset1:114
	ds_write2_b64 v24, v[32:33], v[34:35] offset0:147 offset1:180
	;; [unrolled: 1-line block ×3, first 2 shown]
	ds_write_b64 v52, v[20:21] offset:14520
.LBB0_35:
	s_or_b64 exec, exec, s[6:7]
	v_mul_u32_u24_e32 v16, 3, v58
	v_lshlrev_b32_e32 v28, 4, v16
	s_waitcnt lgkmcnt(0)
	s_barrier
	global_load_dwordx4 v[16:19], v28, s[12:13] offset:3648
	global_load_dwordx4 v[20:23], v28, s[12:13] offset:3664
	;; [unrolled: 1-line block ×3, first 2 shown]
	ds_read2_b64 v[28:31], v124 offset1:231
	ds_read2_b64 v[32:35], v42 offset0:14 offset1:245
	ds_read2_b64 v[36:39], v43 offset0:12 offset1:243
	ds_read2_b64 v[45:48], v44 offset0:10 offset1:241
	s_waitcnt vmcnt(0) lgkmcnt(0)
	s_barrier
	v_mul_f64 v[40:41], v[32:33], v[18:19]
	v_mul_f64 v[51:52], v[36:37], v[22:23]
	;; [unrolled: 1-line block ×12, first 2 shown]
	v_fma_f64 v[4:5], v[4:5], v[16:17], v[40:41]
	v_fma_f64 v[8:9], v[8:9], v[20:21], v[51:52]
	;; [unrolled: 1-line block ×6, first 2 shown]
	v_fma_f64 v[32:33], v[32:33], v[16:17], -v[49:50]
	v_fma_f64 v[36:37], v[36:37], v[20:21], -v[53:54]
	;; [unrolled: 1-line block ×6, first 2 shown]
	v_add_f64 v[8:9], v[0:1], -v[8:9]
	v_add_f64 v[12:13], v[4:5], -v[12:13]
	;; [unrolled: 1-line block ×8, first 2 shown]
	v_fma_f64 v[0:1], v[0:1], 2.0, -v[8:9]
	v_fma_f64 v[4:5], v[4:5], 2.0, -v[12:13]
	v_fma_f64 v[2:3], v[2:3], 2.0, -v[10:11]
	v_fma_f64 v[6:7], v[6:7], 2.0, -v[14:15]
	v_fma_f64 v[26:27], v[28:29], 2.0, -v[22:23]
	v_fma_f64 v[28:29], v[32:33], 2.0, -v[24:25]
	v_fma_f64 v[30:31], v[30:31], 2.0, -v[18:19]
	v_fma_f64 v[16:17], v[16:17], 2.0, -v[20:21]
	v_add_f64 v[24:25], v[8:9], v[24:25]
	v_add_f64 v[4:5], v[0:1], -v[4:5]
	v_add_f64 v[20:21], v[10:11], v[20:21]
	v_add_f64 v[6:7], v[2:3], -v[6:7]
	v_add_f64 v[32:33], v[22:23], -v[12:13]
	;; [unrolled: 1-line block ×5, first 2 shown]
	v_fma_f64 v[8:9], v[8:9], 2.0, -v[24:25]
	v_fma_f64 v[0:1], v[0:1], 2.0, -v[4:5]
	;; [unrolled: 1-line block ×6, first 2 shown]
	ds_write2_b64 v42, v[4:5], v[24:25] offset0:14 offset1:245
	ds_write2_b64 v44, v[6:7], v[20:21] offset0:10 offset1:241
	ds_write2_b64 v124, v[0:1], v[8:9] offset1:231
	ds_write2_b64 v43, v[2:3], v[10:11] offset0:12 offset1:243
	s_waitcnt lgkmcnt(0)
	s_barrier
	ds_read2_b64 v[0:3], v124 offset1:231
	ds_read2_b64 v[8:11], v43 offset0:12 offset1:243
	ds_read2_b64 v[4:7], v42 offset0:14 offset1:245
	ds_read2_b64 v[12:15], v44 offset0:10 offset1:241
	v_fma_f64 v[18:19], v[18:19], 2.0, -v[34:35]
	v_fma_f64 v[30:31], v[30:31], 2.0, -v[16:17]
	s_waitcnt lgkmcnt(0)
	s_barrier
	ds_write2_b64 v124, v[26:27], v[22:23] offset1:231
	ds_write2_b64 v42, v[28:29], v[32:33] offset0:14 offset1:245
	ds_write2_b64 v43, v[30:31], v[18:19] offset0:12 offset1:243
	;; [unrolled: 1-line block ×3, first 2 shown]
	s_waitcnt lgkmcnt(0)
	s_barrier
	s_and_saveexec_b64 s[2:3], s[0:1]
	s_cbranch_execz .LBB0_37
; %bb.36:
	v_add_u32_e32 v47, 0x2b5, v58
	v_mov_b32_e32 v48, 0
	v_lshlrev_b64 v[17:18], 4, v[47:48]
	v_mov_b32_e32 v28, s13
	v_add_co_u32_e32 v17, vcc, s12, v17
	v_addc_co_u32_e32 v18, vcc, v28, v18, vcc
	s_movk_i32 s0, 0x3000
	v_add_u32_e32 v16, 0x1ce, v58
	v_add_co_u32_e32 v24, vcc, s0, v17
	v_mov_b32_e32 v17, v48
	v_lshlrev_b64 v[16:17], 4, v[16:17]
	v_addc_co_u32_e32 v25, vcc, 0, v18, vcc
	v_add_co_u32_e32 v16, vcc, s12, v16
	v_addc_co_u32_e32 v17, vcc, v28, v17, vcc
	v_add_co_u32_e32 v26, vcc, s0, v16
	v_mov_b32_e32 v59, v48
	v_addc_co_u32_e32 v27, vcc, 0, v17, vcc
	global_load_dwordx4 v[16:19], v[24:25], off offset:2448
	global_load_dwordx4 v[20:23], v[26:27], off offset:2448
	v_lshlrev_b64 v[24:25], 4, v[58:59]
	s_movk_i32 s1, 0x4000
	v_add_co_u32_e32 v29, vcc, s12, v24
	v_addc_co_u32_e32 v30, vcc, v28, v25, vcc
	v_add_co_u32_e32 v24, vcc, s0, v29
	v_addc_co_u32_e32 v25, vcc, 0, v30, vcc
	;; [unrolled: 2-line block ×3, first 2 shown]
	global_load_dwordx4 v[24:27], v[24:25], off offset:2448
	v_mul_lo_u32 v53, s5, v60
	global_load_dwordx4 v[28:31], v[28:29], off offset:2048
	v_mul_lo_u32 v54, s4, v61
	v_mad_u64_u32 v[49:50], s[2:3], s4, v60, 0
	v_lshrrev_b32_e32 v55, 2, v58
	s_mov_b32 s1, 0x23769481
	v_mul_hi_u32 v55, v55, s1
	v_add_u32_e32 v36, 0xe00, v124
	v_add_u32_e32 v40, 0x2b00, v124
	;; [unrolled: 1-line block ×3, first 2 shown]
	v_lshlrev_b64 v[51:52], 4, v[56:57]
	v_add_u32_e32 v57, 0xe7, v58
	ds_read2_b64 v[32:35], v124 offset1:231
	ds_read2_b64 v[36:39], v36 offset0:14 offset1:245
	ds_read2_b64 v[40:43], v40 offset0:10 offset1:241
	;; [unrolled: 1-line block ×3, first 2 shown]
	v_lshrrev_b32_e32 v56, 2, v57
	v_add3_u32 v50, v50, v54, v53
	v_mul_hi_u32 v56, v56, s1
	v_lshlrev_b64 v[49:50], 4, v[49:50]
	v_lshrrev_b32_e32 v53, 5, v55
	v_mov_b32_e32 v59, s11
	v_mul_u32_u24_e32 v53, 0x39c, v53
	v_add_co_u32_e32 v49, vcc, s10, v49
	v_sub_u32_e32 v53, v58, v53
	v_addc_co_u32_e32 v50, vcc, v59, v50, vcc
	v_lshrrev_b32_e32 v63, 5, v56
	v_add_co_u32_e32 v64, vcc, v49, v51
	v_lshlrev_b32_e32 v49, 4, v53
	v_addc_co_u32_e32 v65, vcc, v50, v52, vcc
	v_add_co_u32_e32 v49, vcc, v64, v49
	v_addc_co_u32_e32 v50, vcc, 0, v65, vcc
	v_add_co_u32_e32 v51, vcc, s0, v49
	s_movk_i32 s0, 0x738
	v_addc_co_u32_e32 v52, vcc, 0, v50, vcc
	s_waitcnt vmcnt(3)
	v_mul_f64 v[55:56], v[14:15], v[18:19]
	s_waitcnt lgkmcnt(1)
	v_mul_f64 v[18:19], v[42:43], v[18:19]
	s_waitcnt vmcnt(2)
	v_mul_f64 v[59:60], v[12:13], v[22:23]
	v_mul_f64 v[22:23], v[40:41], v[22:23]
	s_waitcnt vmcnt(1)
	v_mul_f64 v[53:54], v[8:9], v[26:27]
	s_waitcnt lgkmcnt(0)
	v_mul_f64 v[26:27], v[44:45], v[26:27]
	s_waitcnt vmcnt(0)
	v_mul_f64 v[61:62], v[10:11], v[30:31]
	v_mul_f64 v[30:31], v[46:47], v[30:31]
	v_fma_f64 v[44:45], v[44:45], v[24:25], -v[53:54]
	v_fma_f64 v[8:9], v[8:9], v[24:25], v[26:27]
	v_fma_f64 v[24:25], v[42:43], v[16:17], -v[55:56]
	v_fma_f64 v[16:17], v[14:15], v[16:17], v[18:19]
	;; [unrolled: 2-line block ×4, first 2 shown]
	v_add_f64 v[10:11], v[32:33], -v[44:45]
	v_add_f64 v[8:9], v[0:1], -v[8:9]
	;; [unrolled: 1-line block ×8, first 2 shown]
	v_fma_f64 v[26:27], v[32:33], 2.0, -v[10:11]
	v_fma_f64 v[24:25], v[0:1], 2.0, -v[8:9]
	v_mul_u32_u24_e32 v0, 0x39c, v63
	v_sub_u32_e32 v0, v57, v0
	v_mad_u32_u24 v47, v63, s0, v0
	v_lshlrev_b64 v[0:1], 4, v[47:48]
	v_fma_f64 v[34:35], v[34:35], 2.0, -v[22:23]
	v_fma_f64 v[32:33], v[2:3], 2.0, -v[20:21]
	v_add_co_u32_e32 v0, vcc, v64, v0
	v_add_u32_e32 v2, 0x1ce, v58
	v_addc_co_u32_e32 v1, vcc, v65, v1, vcc
	v_add_u32_e32 v47, 0x39c, v47
	v_lshrrev_b32_e32 v3, 2, v2
	global_store_dwordx4 v[51:52], v[8:11], off offset:2496
	global_store_dwordx4 v[49:50], v[24:27], off
	global_store_dwordx4 v[0:1], v[32:35], off
	v_lshlrev_b64 v[0:1], 4, v[47:48]
	v_mul_hi_u32 v3, v3, s1
	v_add_co_u32_e32 v0, vcc, v64, v0
	v_addc_co_u32_e32 v1, vcc, v65, v1, vcc
	v_fma_f64 v[28:29], v[6:7], 2.0, -v[12:13]
	v_fma_f64 v[6:7], v[36:37], 2.0, -v[18:19]
	;; [unrolled: 1-line block ×3, first 2 shown]
	global_store_dwordx4 v[0:1], v[20:23], off
	v_lshrrev_b32_e32 v0, 5, v3
	v_mul_u32_u24_e32 v1, 0x39c, v0
	v_sub_u32_e32 v1, v2, v1
	v_mad_u32_u24 v47, v0, s0, v1
	v_lshlrev_b64 v[0:1], 4, v[47:48]
	v_add_u32_e32 v2, 0x2b5, v58
	v_add_co_u32_e32 v0, vcc, v64, v0
	v_addc_co_u32_e32 v1, vcc, v65, v1, vcc
	v_add_u32_e32 v47, 0x39c, v47
	v_lshrrev_b32_e32 v3, 2, v2
	global_store_dwordx4 v[0:1], v[4:7], off
	v_lshlrev_b64 v[0:1], 4, v[47:48]
	v_mul_hi_u32 v3, v3, s1
	v_add_co_u32_e32 v0, vcc, v64, v0
	v_addc_co_u32_e32 v1, vcc, v65, v1, vcc
	v_fma_f64 v[30:31], v[38:39], 2.0, -v[14:15]
	global_store_dwordx4 v[0:1], v[16:19], off
	v_lshrrev_b32_e32 v0, 5, v3
	v_mul_u32_u24_e32 v1, 0x39c, v0
	v_sub_u32_e32 v1, v2, v1
	v_mad_u32_u24 v47, v0, s0, v1
	v_lshlrev_b64 v[0:1], 4, v[47:48]
	v_add_u32_e32 v47, 0x39c, v47
	v_add_co_u32_e32 v0, vcc, v64, v0
	v_addc_co_u32_e32 v1, vcc, v65, v1, vcc
	global_store_dwordx4 v[0:1], v[28:31], off
	v_lshlrev_b64 v[0:1], 4, v[47:48]
	v_add_co_u32_e32 v0, vcc, v64, v0
	v_addc_co_u32_e32 v1, vcc, v65, v1, vcc
	global_store_dwordx4 v[0:1], v[12:15], off
.LBB0_37:
	s_endpgm
	.section	.rodata,"a",@progbits
	.p2align	6, 0x0
	.amdhsa_kernel fft_rtc_back_len1848_factors_3_11_7_4_2_wgs_231_tpt_231_halfLds_dp_op_CI_CI_unitstride_sbrr_dirReg
		.amdhsa_group_segment_fixed_size 0
		.amdhsa_private_segment_fixed_size 0
		.amdhsa_kernarg_size 104
		.amdhsa_user_sgpr_count 6
		.amdhsa_user_sgpr_private_segment_buffer 1
		.amdhsa_user_sgpr_dispatch_ptr 0
		.amdhsa_user_sgpr_queue_ptr 0
		.amdhsa_user_sgpr_kernarg_segment_ptr 1
		.amdhsa_user_sgpr_dispatch_id 0
		.amdhsa_user_sgpr_flat_scratch_init 0
		.amdhsa_user_sgpr_private_segment_size 0
		.amdhsa_uses_dynamic_stack 0
		.amdhsa_system_sgpr_private_segment_wavefront_offset 0
		.amdhsa_system_sgpr_workgroup_id_x 1
		.amdhsa_system_sgpr_workgroup_id_y 0
		.amdhsa_system_sgpr_workgroup_id_z 0
		.amdhsa_system_sgpr_workgroup_info 0
		.amdhsa_system_vgpr_workitem_id 0
		.amdhsa_next_free_vgpr 162
		.amdhsa_next_free_sgpr 42
		.amdhsa_reserve_vcc 1
		.amdhsa_reserve_flat_scratch 0
		.amdhsa_float_round_mode_32 0
		.amdhsa_float_round_mode_16_64 0
		.amdhsa_float_denorm_mode_32 3
		.amdhsa_float_denorm_mode_16_64 3
		.amdhsa_dx10_clamp 1
		.amdhsa_ieee_mode 1
		.amdhsa_fp16_overflow 0
		.amdhsa_exception_fp_ieee_invalid_op 0
		.amdhsa_exception_fp_denorm_src 0
		.amdhsa_exception_fp_ieee_div_zero 0
		.amdhsa_exception_fp_ieee_overflow 0
		.amdhsa_exception_fp_ieee_underflow 0
		.amdhsa_exception_fp_ieee_inexact 0
		.amdhsa_exception_int_div_zero 0
	.end_amdhsa_kernel
	.text
.Lfunc_end0:
	.size	fft_rtc_back_len1848_factors_3_11_7_4_2_wgs_231_tpt_231_halfLds_dp_op_CI_CI_unitstride_sbrr_dirReg, .Lfunc_end0-fft_rtc_back_len1848_factors_3_11_7_4_2_wgs_231_tpt_231_halfLds_dp_op_CI_CI_unitstride_sbrr_dirReg
                                        ; -- End function
	.section	.AMDGPU.csdata,"",@progbits
; Kernel info:
; codeLenInByte = 10244
; NumSgprs: 46
; NumVgprs: 162
; ScratchSize: 0
; MemoryBound: 1
; FloatMode: 240
; IeeeMode: 1
; LDSByteSize: 0 bytes/workgroup (compile time only)
; SGPRBlocks: 5
; VGPRBlocks: 40
; NumSGPRsForWavesPerEU: 46
; NumVGPRsForWavesPerEU: 162
; Occupancy: 1
; WaveLimiterHint : 1
; COMPUTE_PGM_RSRC2:SCRATCH_EN: 0
; COMPUTE_PGM_RSRC2:USER_SGPR: 6
; COMPUTE_PGM_RSRC2:TRAP_HANDLER: 0
; COMPUTE_PGM_RSRC2:TGID_X_EN: 1
; COMPUTE_PGM_RSRC2:TGID_Y_EN: 0
; COMPUTE_PGM_RSRC2:TGID_Z_EN: 0
; COMPUTE_PGM_RSRC2:TIDIG_COMP_CNT: 0
	.type	__hip_cuid_a4b20397a51ab965,@object ; @__hip_cuid_a4b20397a51ab965
	.section	.bss,"aw",@nobits
	.globl	__hip_cuid_a4b20397a51ab965
__hip_cuid_a4b20397a51ab965:
	.byte	0                               ; 0x0
	.size	__hip_cuid_a4b20397a51ab965, 1

	.ident	"AMD clang version 19.0.0git (https://github.com/RadeonOpenCompute/llvm-project roc-6.4.0 25133 c7fe45cf4b819c5991fe208aaa96edf142730f1d)"
	.section	".note.GNU-stack","",@progbits
	.addrsig
	.addrsig_sym __hip_cuid_a4b20397a51ab965
	.amdgpu_metadata
---
amdhsa.kernels:
  - .args:
      - .actual_access:  read_only
        .address_space:  global
        .offset:         0
        .size:           8
        .value_kind:     global_buffer
      - .offset:         8
        .size:           8
        .value_kind:     by_value
      - .actual_access:  read_only
        .address_space:  global
        .offset:         16
        .size:           8
        .value_kind:     global_buffer
      - .actual_access:  read_only
        .address_space:  global
        .offset:         24
        .size:           8
        .value_kind:     global_buffer
      - .actual_access:  read_only
        .address_space:  global
        .offset:         32
        .size:           8
        .value_kind:     global_buffer
      - .offset:         40
        .size:           8
        .value_kind:     by_value
      - .actual_access:  read_only
        .address_space:  global
        .offset:         48
        .size:           8
        .value_kind:     global_buffer
      - .actual_access:  read_only
        .address_space:  global
        .offset:         56
        .size:           8
        .value_kind:     global_buffer
      - .offset:         64
        .size:           4
        .value_kind:     by_value
      - .actual_access:  read_only
        .address_space:  global
        .offset:         72
        .size:           8
        .value_kind:     global_buffer
      - .actual_access:  read_only
        .address_space:  global
        .offset:         80
        .size:           8
        .value_kind:     global_buffer
      - .actual_access:  read_only
        .address_space:  global
        .offset:         88
        .size:           8
        .value_kind:     global_buffer
      - .actual_access:  write_only
        .address_space:  global
        .offset:         96
        .size:           8
        .value_kind:     global_buffer
    .group_segment_fixed_size: 0
    .kernarg_segment_align: 8
    .kernarg_segment_size: 104
    .language:       OpenCL C
    .language_version:
      - 2
      - 0
    .max_flat_workgroup_size: 231
    .name:           fft_rtc_back_len1848_factors_3_11_7_4_2_wgs_231_tpt_231_halfLds_dp_op_CI_CI_unitstride_sbrr_dirReg
    .private_segment_fixed_size: 0
    .sgpr_count:     46
    .sgpr_spill_count: 0
    .symbol:         fft_rtc_back_len1848_factors_3_11_7_4_2_wgs_231_tpt_231_halfLds_dp_op_CI_CI_unitstride_sbrr_dirReg.kd
    .uniform_work_group_size: 1
    .uses_dynamic_stack: false
    .vgpr_count:     162
    .vgpr_spill_count: 0
    .wavefront_size: 64
amdhsa.target:   amdgcn-amd-amdhsa--gfx906
amdhsa.version:
  - 1
  - 2
...

	.end_amdgpu_metadata
